;; amdgpu-corpus repo=ROCm/hip-tests kind=compiled arch=gfx1250 opt=O3
	.amdgcn_target "amdgcn-amd-amdhsa--gfx1250"
	.amdhsa_code_object_version 6
	.text
	.protected	_Z10NullKernelv         ; -- Begin function _Z10NullKernelv
	.globl	_Z10NullKernelv
	.p2align	8
	.type	_Z10NullKernelv,@function
_Z10NullKernelv:                        ; @_Z10NullKernelv
; %bb.0:
	s_endpgm
	.section	.rodata,"a",@progbits
	.p2align	6, 0x0
	.amdhsa_kernel _Z10NullKernelv
		.amdhsa_group_segment_fixed_size 0
		.amdhsa_private_segment_fixed_size 0
		.amdhsa_kernarg_size 0
		.amdhsa_user_sgpr_count 0
		.amdhsa_user_sgpr_dispatch_ptr 0
		.amdhsa_user_sgpr_queue_ptr 0
		.amdhsa_user_sgpr_kernarg_segment_ptr 0
		.amdhsa_user_sgpr_dispatch_id 0
		.amdhsa_user_sgpr_kernarg_preload_length 0
		.amdhsa_user_sgpr_kernarg_preload_offset 0
		.amdhsa_user_sgpr_private_segment_size 0
		.amdhsa_wavefront_size32 1
		.amdhsa_uses_dynamic_stack 0
		.amdhsa_enable_private_segment 0
		.amdhsa_system_sgpr_workgroup_id_x 1
		.amdhsa_system_sgpr_workgroup_id_y 0
		.amdhsa_system_sgpr_workgroup_id_z 0
		.amdhsa_system_sgpr_workgroup_info 0
		.amdhsa_system_vgpr_workitem_id 0
		.amdhsa_next_free_vgpr 1
		.amdhsa_next_free_sgpr 1
		.amdhsa_named_barrier_count 0
		.amdhsa_reserve_vcc 0
		.amdhsa_float_round_mode_32 0
		.amdhsa_float_round_mode_16_64 0
		.amdhsa_float_denorm_mode_32 3
		.amdhsa_float_denorm_mode_16_64 3
		.amdhsa_fp16_overflow 0
		.amdhsa_memory_ordered 1
		.amdhsa_forward_progress 1
		.amdhsa_inst_pref_size 1
		.amdhsa_round_robin_scheduling 0
		.amdhsa_exception_fp_ieee_invalid_op 0
		.amdhsa_exception_fp_denorm_src 0
		.amdhsa_exception_fp_ieee_div_zero 0
		.amdhsa_exception_fp_ieee_overflow 0
		.amdhsa_exception_fp_ieee_underflow 0
		.amdhsa_exception_fp_ieee_inexact 0
		.amdhsa_exception_int_div_zero 0
	.end_amdhsa_kernel
	.text
.Lfunc_end0:
	.size	_Z10NullKernelv, .Lfunc_end0-_Z10NullKernelv
                                        ; -- End function
	.set _Z10NullKernelv.num_vgpr, 0
	.set _Z10NullKernelv.num_agpr, 0
	.set _Z10NullKernelv.numbered_sgpr, 0
	.set _Z10NullKernelv.num_named_barrier, 0
	.set _Z10NullKernelv.private_seg_size, 0
	.set _Z10NullKernelv.uses_vcc, 0
	.set _Z10NullKernelv.uses_flat_scratch, 0
	.set _Z10NullKernelv.has_dyn_sized_stack, 0
	.set _Z10NullKernelv.has_recursion, 0
	.set _Z10NullKernelv.has_indirect_call, 0
	.section	.AMDGPU.csdata,"",@progbits
; Kernel info:
; codeLenInByte = 4
; TotalNumSgprs: 0
; NumVgprs: 0
; ScratchSize: 0
; MemoryBound: 0
; FloatMode: 240
; IeeeMode: 1
; LDSByteSize: 0 bytes/workgroup (compile time only)
; SGPRBlocks: 0
; VGPRBlocks: 0
; NumSGPRsForWavesPerEU: 1
; NumVGPRsForWavesPerEU: 1
; NamedBarCnt: 0
; Occupancy: 16
; WaveLimiterHint : 0
; COMPUTE_PGM_RSRC2:SCRATCH_EN: 0
; COMPUTE_PGM_RSRC2:USER_SGPR: 0
; COMPUTE_PGM_RSRC2:TRAP_HANDLER: 0
; COMPUTE_PGM_RSRC2:TGID_X_EN: 1
; COMPUTE_PGM_RSRC2:TGID_Y_EN: 0
; COMPUTE_PGM_RSRC2:TGID_Z_EN: 0
; COMPUTE_PGM_RSRC2:TIDIG_COMP_CNT: 0
	.text
	.protected	_Z19KernelWithSmallArgs15SmallKernelArgsPc ; -- Begin function _Z19KernelWithSmallArgs15SmallKernelArgsPc
	.globl	_Z19KernelWithSmallArgs15SmallKernelArgsPc
	.p2align	8
	.type	_Z19KernelWithSmallArgs15SmallKernelArgsPc,@function
_Z19KernelWithSmallArgs15SmallKernelArgsPc: ; @_Z19KernelWithSmallArgs15SmallKernelArgsPc
; %bb.0:
	s_load_b64 s[2:3], s[0:1], 0x10
	s_wait_kmcnt 0x0
	s_cmp_eq_u64 s[2:3], 0
	s_cbranch_scc1 .LBB1_2
; %bb.1:
	s_load_b32 s4, s[0:1], 0x24
	s_bfe_u32 s5, ttmp6, 0x4000c
	s_and_b32 s6, ttmp6, 15
	s_add_co_i32 s5, s5, 1
	s_getreg_b32 s7, hwreg(HW_REG_IB_STS2, 6, 4)
	s_mul_i32 s5, ttmp9, s5
	v_mov_b32_e32 v1, 0
	s_add_co_i32 s6, s6, s5
	s_wait_kmcnt 0x0
	s_and_b32 s4, s4, 0xffff
	s_cmp_eq_u32 s7, 0
	s_cselect_b32 s5, ttmp9, s6
	s_delay_alu instid0(SALU_CYCLE_1)
	v_mad_u32 v0, s5, s4, v0
	global_load_u8 v0, v0, s[0:1]
	s_wait_loadcnt 0x0
	global_store_b8 v1, v0, s[2:3]
.LBB1_2:
	s_endpgm
	.section	.rodata,"a",@progbits
	.p2align	6, 0x0
	.amdhsa_kernel _Z19KernelWithSmallArgs15SmallKernelArgsPc
		.amdhsa_group_segment_fixed_size 0
		.amdhsa_private_segment_fixed_size 0
		.amdhsa_kernarg_size 280
		.amdhsa_user_sgpr_count 2
		.amdhsa_user_sgpr_dispatch_ptr 0
		.amdhsa_user_sgpr_queue_ptr 0
		.amdhsa_user_sgpr_kernarg_segment_ptr 1
		.amdhsa_user_sgpr_dispatch_id 0
		.amdhsa_user_sgpr_kernarg_preload_length 0
		.amdhsa_user_sgpr_kernarg_preload_offset 0
		.amdhsa_user_sgpr_private_segment_size 0
		.amdhsa_wavefront_size32 1
		.amdhsa_uses_dynamic_stack 0
		.amdhsa_enable_private_segment 0
		.amdhsa_system_sgpr_workgroup_id_x 1
		.amdhsa_system_sgpr_workgroup_id_y 0
		.amdhsa_system_sgpr_workgroup_id_z 0
		.amdhsa_system_sgpr_workgroup_info 0
		.amdhsa_system_vgpr_workitem_id 0
		.amdhsa_next_free_vgpr 2
		.amdhsa_next_free_sgpr 8
		.amdhsa_named_barrier_count 0
		.amdhsa_reserve_vcc 0
		.amdhsa_float_round_mode_32 0
		.amdhsa_float_round_mode_16_64 0
		.amdhsa_float_denorm_mode_32 3
		.amdhsa_float_denorm_mode_16_64 3
		.amdhsa_fp16_overflow 0
		.amdhsa_memory_ordered 1
		.amdhsa_forward_progress 1
		.amdhsa_inst_pref_size 1
		.amdhsa_round_robin_scheduling 0
		.amdhsa_exception_fp_ieee_invalid_op 0
		.amdhsa_exception_fp_denorm_src 0
		.amdhsa_exception_fp_ieee_div_zero 0
		.amdhsa_exception_fp_ieee_overflow 0
		.amdhsa_exception_fp_ieee_underflow 0
		.amdhsa_exception_fp_ieee_inexact 0
		.amdhsa_exception_int_div_zero 0
	.end_amdhsa_kernel
	.text
.Lfunc_end1:
	.size	_Z19KernelWithSmallArgs15SmallKernelArgsPc, .Lfunc_end1-_Z19KernelWithSmallArgs15SmallKernelArgsPc
                                        ; -- End function
	.set _Z19KernelWithSmallArgs15SmallKernelArgsPc.num_vgpr, 2
	.set _Z19KernelWithSmallArgs15SmallKernelArgsPc.num_agpr, 0
	.set _Z19KernelWithSmallArgs15SmallKernelArgsPc.numbered_sgpr, 8
	.set _Z19KernelWithSmallArgs15SmallKernelArgsPc.num_named_barrier, 0
	.set _Z19KernelWithSmallArgs15SmallKernelArgsPc.private_seg_size, 0
	.set _Z19KernelWithSmallArgs15SmallKernelArgsPc.uses_vcc, 0
	.set _Z19KernelWithSmallArgs15SmallKernelArgsPc.uses_flat_scratch, 0
	.set _Z19KernelWithSmallArgs15SmallKernelArgsPc.has_dyn_sized_stack, 0
	.set _Z19KernelWithSmallArgs15SmallKernelArgsPc.has_recursion, 0
	.set _Z19KernelWithSmallArgs15SmallKernelArgsPc.has_indirect_call, 0
	.section	.AMDGPU.csdata,"",@progbits
; Kernel info:
; codeLenInByte = 124
; TotalNumSgprs: 8
; NumVgprs: 2
; ScratchSize: 0
; MemoryBound: 0
; FloatMode: 240
; IeeeMode: 1
; LDSByteSize: 0 bytes/workgroup (compile time only)
; SGPRBlocks: 0
; VGPRBlocks: 0
; NumSGPRsForWavesPerEU: 8
; NumVGPRsForWavesPerEU: 2
; NamedBarCnt: 0
; Occupancy: 16
; WaveLimiterHint : 0
; COMPUTE_PGM_RSRC2:SCRATCH_EN: 0
; COMPUTE_PGM_RSRC2:USER_SGPR: 2
; COMPUTE_PGM_RSRC2:TRAP_HANDLER: 0
; COMPUTE_PGM_RSRC2:TGID_X_EN: 1
; COMPUTE_PGM_RSRC2:TGID_Y_EN: 0
; COMPUTE_PGM_RSRC2:TGID_Z_EN: 0
; COMPUTE_PGM_RSRC2:TIDIG_COMP_CNT: 0
	.text
	.protected	_Z20KernelWithMediumArgs16MediumKernelArgsPc ; -- Begin function _Z20KernelWithMediumArgs16MediumKernelArgsPc
	.globl	_Z20KernelWithMediumArgs16MediumKernelArgsPc
	.p2align	8
	.type	_Z20KernelWithMediumArgs16MediumKernelArgsPc,@function
_Z20KernelWithMediumArgs16MediumKernelArgsPc: ; @_Z20KernelWithMediumArgs16MediumKernelArgsPc
; %bb.0:
	s_load_b64 s[2:3], s[0:1], 0x100
	s_wait_kmcnt 0x0
	s_cmp_eq_u64 s[2:3], 0
	s_cbranch_scc1 .LBB2_2
; %bb.1:
	s_load_b32 s4, s[0:1], 0x114
	s_bfe_u32 s5, ttmp6, 0x4000c
	s_and_b32 s6, ttmp6, 15
	s_add_co_i32 s5, s5, 1
	s_getreg_b32 s7, hwreg(HW_REG_IB_STS2, 6, 4)
	s_mul_i32 s5, ttmp9, s5
	v_mov_b32_e32 v1, 0
	s_add_co_i32 s6, s6, s5
	s_wait_kmcnt 0x0
	s_and_b32 s4, s4, 0xffff
	s_cmp_eq_u32 s7, 0
	s_cselect_b32 s5, ttmp9, s6
	s_delay_alu instid0(SALU_CYCLE_1)
	v_mad_u32 v0, s5, s4, v0
	global_load_u8 v0, v0, s[0:1]
	s_wait_loadcnt 0x0
	global_store_b8 v1, v0, s[2:3]
.LBB2_2:
	s_endpgm
	.section	.rodata,"a",@progbits
	.p2align	6, 0x0
	.amdhsa_kernel _Z20KernelWithMediumArgs16MediumKernelArgsPc
		.amdhsa_group_segment_fixed_size 0
		.amdhsa_private_segment_fixed_size 0
		.amdhsa_kernarg_size 520
		.amdhsa_user_sgpr_count 2
		.amdhsa_user_sgpr_dispatch_ptr 0
		.amdhsa_user_sgpr_queue_ptr 0
		.amdhsa_user_sgpr_kernarg_segment_ptr 1
		.amdhsa_user_sgpr_dispatch_id 0
		.amdhsa_user_sgpr_kernarg_preload_length 0
		.amdhsa_user_sgpr_kernarg_preload_offset 0
		.amdhsa_user_sgpr_private_segment_size 0
		.amdhsa_wavefront_size32 1
		.amdhsa_uses_dynamic_stack 0
		.amdhsa_enable_private_segment 0
		.amdhsa_system_sgpr_workgroup_id_x 1
		.amdhsa_system_sgpr_workgroup_id_y 0
		.amdhsa_system_sgpr_workgroup_id_z 0
		.amdhsa_system_sgpr_workgroup_info 0
		.amdhsa_system_vgpr_workitem_id 0
		.amdhsa_next_free_vgpr 2
		.amdhsa_next_free_sgpr 8
		.amdhsa_named_barrier_count 0
		.amdhsa_reserve_vcc 0
		.amdhsa_float_round_mode_32 0
		.amdhsa_float_round_mode_16_64 0
		.amdhsa_float_denorm_mode_32 3
		.amdhsa_float_denorm_mode_16_64 3
		.amdhsa_fp16_overflow 0
		.amdhsa_memory_ordered 1
		.amdhsa_forward_progress 1
		.amdhsa_inst_pref_size 1
		.amdhsa_round_robin_scheduling 0
		.amdhsa_exception_fp_ieee_invalid_op 0
		.amdhsa_exception_fp_denorm_src 0
		.amdhsa_exception_fp_ieee_div_zero 0
		.amdhsa_exception_fp_ieee_overflow 0
		.amdhsa_exception_fp_ieee_underflow 0
		.amdhsa_exception_fp_ieee_inexact 0
		.amdhsa_exception_int_div_zero 0
	.end_amdhsa_kernel
	.text
.Lfunc_end2:
	.size	_Z20KernelWithMediumArgs16MediumKernelArgsPc, .Lfunc_end2-_Z20KernelWithMediumArgs16MediumKernelArgsPc
                                        ; -- End function
	.set _Z20KernelWithMediumArgs16MediumKernelArgsPc.num_vgpr, 2
	.set _Z20KernelWithMediumArgs16MediumKernelArgsPc.num_agpr, 0
	.set _Z20KernelWithMediumArgs16MediumKernelArgsPc.numbered_sgpr, 8
	.set _Z20KernelWithMediumArgs16MediumKernelArgsPc.num_named_barrier, 0
	.set _Z20KernelWithMediumArgs16MediumKernelArgsPc.private_seg_size, 0
	.set _Z20KernelWithMediumArgs16MediumKernelArgsPc.uses_vcc, 0
	.set _Z20KernelWithMediumArgs16MediumKernelArgsPc.uses_flat_scratch, 0
	.set _Z20KernelWithMediumArgs16MediumKernelArgsPc.has_dyn_sized_stack, 0
	.set _Z20KernelWithMediumArgs16MediumKernelArgsPc.has_recursion, 0
	.set _Z20KernelWithMediumArgs16MediumKernelArgsPc.has_indirect_call, 0
	.section	.AMDGPU.csdata,"",@progbits
; Kernel info:
; codeLenInByte = 124
; TotalNumSgprs: 8
; NumVgprs: 2
; ScratchSize: 0
; MemoryBound: 0
; FloatMode: 240
; IeeeMode: 1
; LDSByteSize: 0 bytes/workgroup (compile time only)
; SGPRBlocks: 0
; VGPRBlocks: 0
; NumSGPRsForWavesPerEU: 8
; NumVGPRsForWavesPerEU: 2
; NamedBarCnt: 0
; Occupancy: 16
; WaveLimiterHint : 0
; COMPUTE_PGM_RSRC2:SCRATCH_EN: 0
; COMPUTE_PGM_RSRC2:USER_SGPR: 2
; COMPUTE_PGM_RSRC2:TRAP_HANDLER: 0
; COMPUTE_PGM_RSRC2:TGID_X_EN: 1
; COMPUTE_PGM_RSRC2:TGID_Y_EN: 0
; COMPUTE_PGM_RSRC2:TGID_Z_EN: 0
; COMPUTE_PGM_RSRC2:TIDIG_COMP_CNT: 0
	.text
	.protected	_Z19KernelWithLargeArgs15LargeKernelArgsPc ; -- Begin function _Z19KernelWithLargeArgs15LargeKernelArgsPc
	.globl	_Z19KernelWithLargeArgs15LargeKernelArgsPc
	.p2align	8
	.type	_Z19KernelWithLargeArgs15LargeKernelArgsPc,@function
_Z19KernelWithLargeArgs15LargeKernelArgsPc: ; @_Z19KernelWithLargeArgs15LargeKernelArgsPc
; %bb.0:
	s_load_b64 s[2:3], s[0:1], 0xff0
	s_wait_kmcnt 0x0
	s_cmp_eq_u64 s[2:3], 0
	s_cbranch_scc1 .LBB3_2
; %bb.1:
	s_load_b32 s4, s[0:1], 0x1004
	s_bfe_u32 s5, ttmp6, 0x4000c
	s_and_b32 s6, ttmp6, 15
	s_add_co_i32 s5, s5, 1
	s_getreg_b32 s7, hwreg(HW_REG_IB_STS2, 6, 4)
	s_mul_i32 s5, ttmp9, s5
	v_mov_b32_e32 v1, 0
	s_add_co_i32 s6, s6, s5
	s_wait_kmcnt 0x0
	s_and_b32 s4, s4, 0xffff
	s_cmp_eq_u32 s7, 0
	s_cselect_b32 s5, ttmp9, s6
	s_delay_alu instid0(SALU_CYCLE_1)
	v_mad_u32 v0, s5, s4, v0
	global_load_u8 v0, v0, s[0:1]
	s_wait_loadcnt 0x0
	global_store_b8 v1, v0, s[2:3]
.LBB3_2:
	s_endpgm
	.section	.rodata,"a",@progbits
	.p2align	6, 0x0
	.amdhsa_kernel _Z19KernelWithLargeArgs15LargeKernelArgsPc
		.amdhsa_group_segment_fixed_size 0
		.amdhsa_private_segment_fixed_size 0
		.amdhsa_kernarg_size 4344
		.amdhsa_user_sgpr_count 2
		.amdhsa_user_sgpr_dispatch_ptr 0
		.amdhsa_user_sgpr_queue_ptr 0
		.amdhsa_user_sgpr_kernarg_segment_ptr 1
		.amdhsa_user_sgpr_dispatch_id 0
		.amdhsa_user_sgpr_kernarg_preload_length 0
		.amdhsa_user_sgpr_kernarg_preload_offset 0
		.amdhsa_user_sgpr_private_segment_size 0
		.amdhsa_wavefront_size32 1
		.amdhsa_uses_dynamic_stack 0
		.amdhsa_enable_private_segment 0
		.amdhsa_system_sgpr_workgroup_id_x 1
		.amdhsa_system_sgpr_workgroup_id_y 0
		.amdhsa_system_sgpr_workgroup_id_z 0
		.amdhsa_system_sgpr_workgroup_info 0
		.amdhsa_system_vgpr_workitem_id 0
		.amdhsa_next_free_vgpr 2
		.amdhsa_next_free_sgpr 8
		.amdhsa_named_barrier_count 0
		.amdhsa_reserve_vcc 0
		.amdhsa_float_round_mode_32 0
		.amdhsa_float_round_mode_16_64 0
		.amdhsa_float_denorm_mode_32 3
		.amdhsa_float_denorm_mode_16_64 3
		.amdhsa_fp16_overflow 0
		.amdhsa_memory_ordered 1
		.amdhsa_forward_progress 1
		.amdhsa_inst_pref_size 1
		.amdhsa_round_robin_scheduling 0
		.amdhsa_exception_fp_ieee_invalid_op 0
		.amdhsa_exception_fp_denorm_src 0
		.amdhsa_exception_fp_ieee_div_zero 0
		.amdhsa_exception_fp_ieee_overflow 0
		.amdhsa_exception_fp_ieee_underflow 0
		.amdhsa_exception_fp_ieee_inexact 0
		.amdhsa_exception_int_div_zero 0
	.end_amdhsa_kernel
	.text
.Lfunc_end3:
	.size	_Z19KernelWithLargeArgs15LargeKernelArgsPc, .Lfunc_end3-_Z19KernelWithLargeArgs15LargeKernelArgsPc
                                        ; -- End function
	.set _Z19KernelWithLargeArgs15LargeKernelArgsPc.num_vgpr, 2
	.set _Z19KernelWithLargeArgs15LargeKernelArgsPc.num_agpr, 0
	.set _Z19KernelWithLargeArgs15LargeKernelArgsPc.numbered_sgpr, 8
	.set _Z19KernelWithLargeArgs15LargeKernelArgsPc.num_named_barrier, 0
	.set _Z19KernelWithLargeArgs15LargeKernelArgsPc.private_seg_size, 0
	.set _Z19KernelWithLargeArgs15LargeKernelArgsPc.uses_vcc, 0
	.set _Z19KernelWithLargeArgs15LargeKernelArgsPc.uses_flat_scratch, 0
	.set _Z19KernelWithLargeArgs15LargeKernelArgsPc.has_dyn_sized_stack, 0
	.set _Z19KernelWithLargeArgs15LargeKernelArgsPc.has_recursion, 0
	.set _Z19KernelWithLargeArgs15LargeKernelArgsPc.has_indirect_call, 0
	.section	.AMDGPU.csdata,"",@progbits
; Kernel info:
; codeLenInByte = 124
; TotalNumSgprs: 8
; NumVgprs: 2
; ScratchSize: 0
; MemoryBound: 0
; FloatMode: 240
; IeeeMode: 1
; LDSByteSize: 0 bytes/workgroup (compile time only)
; SGPRBlocks: 0
; VGPRBlocks: 0
; NumSGPRsForWavesPerEU: 8
; NumVGPRsForWavesPerEU: 2
; NamedBarCnt: 0
; Occupancy: 16
; WaveLimiterHint : 0
; COMPUTE_PGM_RSRC2:SCRATCH_EN: 0
; COMPUTE_PGM_RSRC2:USER_SGPR: 2
; COMPUTE_PGM_RSRC2:TRAP_HANDLER: 0
; COMPUTE_PGM_RSRC2:TGID_X_EN: 1
; COMPUTE_PGM_RSRC2:TGID_Y_EN: 0
; COMPUTE_PGM_RSRC2:TGID_Z_EN: 0
; COMPUTE_PGM_RSRC2:TIDIG_COMP_CNT: 0
	.text
	.p2alignl 7, 3214868480
	.fill 96, 4, 3214868480
	.section	.AMDGPU.gpr_maximums,"",@progbits
	.set amdgpu.max_num_vgpr, 0
	.set amdgpu.max_num_agpr, 0
	.set amdgpu.max_num_sgpr, 0
	.text
	.type	__hip_cuid_a47214ce3fb5ff8d,@object ; @__hip_cuid_a47214ce3fb5ff8d
	.section	.bss,"aw",@nobits
	.globl	__hip_cuid_a47214ce3fb5ff8d
__hip_cuid_a47214ce3fb5ff8d:
	.byte	0                               ; 0x0
	.size	__hip_cuid_a47214ce3fb5ff8d, 1

	.ident	"AMD clang version 22.0.0git (https://github.com/RadeonOpenCompute/llvm-project roc-7.2.4 26084 f58b06dce1f9c15707c5f808fd002e18c2accf7e)"
	.section	".note.GNU-stack","",@progbits
	.addrsig
	.addrsig_sym __hip_cuid_a47214ce3fb5ff8d
	.amdgpu_metadata
---
amdhsa.kernels:
  - .args:           []
    .group_segment_fixed_size: 0
    .kernarg_segment_align: 4
    .kernarg_segment_size: 0
    .language:       OpenCL C
    .language_version:
      - 2
      - 0
    .max_flat_workgroup_size: 1024
    .name:           _Z10NullKernelv
    .private_segment_fixed_size: 0
    .sgpr_count:     0
    .sgpr_spill_count: 0
    .symbol:         _Z10NullKernelv.kd
    .uniform_work_group_size: 1
    .uses_dynamic_stack: false
    .vgpr_count:     0
    .vgpr_spill_count: 0
    .wavefront_size: 32
  - .args:
      - .offset:         0
        .size:           16
        .value_kind:     by_value
      - .address_space:  global
        .offset:         16
        .size:           8
        .value_kind:     global_buffer
      - .offset:         24
        .size:           4
        .value_kind:     hidden_block_count_x
      - .offset:         28
        .size:           4
        .value_kind:     hidden_block_count_y
      - .offset:         32
        .size:           4
        .value_kind:     hidden_block_count_z
      - .offset:         36
        .size:           2
        .value_kind:     hidden_group_size_x
      - .offset:         38
        .size:           2
        .value_kind:     hidden_group_size_y
      - .offset:         40
        .size:           2
        .value_kind:     hidden_group_size_z
      - .offset:         42
        .size:           2
        .value_kind:     hidden_remainder_x
      - .offset:         44
        .size:           2
        .value_kind:     hidden_remainder_y
      - .offset:         46
        .size:           2
        .value_kind:     hidden_remainder_z
      - .offset:         64
        .size:           8
        .value_kind:     hidden_global_offset_x
      - .offset:         72
        .size:           8
        .value_kind:     hidden_global_offset_y
      - .offset:         80
        .size:           8
        .value_kind:     hidden_global_offset_z
      - .offset:         88
        .size:           2
        .value_kind:     hidden_grid_dims
    .group_segment_fixed_size: 0
    .kernarg_segment_align: 8
    .kernarg_segment_size: 280
    .language:       OpenCL C
    .language_version:
      - 2
      - 0
    .max_flat_workgroup_size: 1024
    .name:           _Z19KernelWithSmallArgs15SmallKernelArgsPc
    .private_segment_fixed_size: 0
    .sgpr_count:     8
    .sgpr_spill_count: 0
    .symbol:         _Z19KernelWithSmallArgs15SmallKernelArgsPc.kd
    .uniform_work_group_size: 1
    .uses_dynamic_stack: false
    .vgpr_count:     2
    .vgpr_spill_count: 0
    .wavefront_size: 32
  - .args:
      - .offset:         0
        .size:           256
        .value_kind:     by_value
      - .address_space:  global
        .offset:         256
        .size:           8
        .value_kind:     global_buffer
      - .offset:         264
        .size:           4
        .value_kind:     hidden_block_count_x
      - .offset:         268
        .size:           4
        .value_kind:     hidden_block_count_y
      - .offset:         272
        .size:           4
        .value_kind:     hidden_block_count_z
      - .offset:         276
        .size:           2
        .value_kind:     hidden_group_size_x
      - .offset:         278
        .size:           2
        .value_kind:     hidden_group_size_y
      - .offset:         280
        .size:           2
        .value_kind:     hidden_group_size_z
      - .offset:         282
        .size:           2
        .value_kind:     hidden_remainder_x
      - .offset:         284
        .size:           2
        .value_kind:     hidden_remainder_y
      - .offset:         286
        .size:           2
        .value_kind:     hidden_remainder_z
      - .offset:         304
        .size:           8
        .value_kind:     hidden_global_offset_x
      - .offset:         312
        .size:           8
        .value_kind:     hidden_global_offset_y
      - .offset:         320
        .size:           8
        .value_kind:     hidden_global_offset_z
      - .offset:         328
        .size:           2
        .value_kind:     hidden_grid_dims
    .group_segment_fixed_size: 0
    .kernarg_segment_align: 8
    .kernarg_segment_size: 520
    .language:       OpenCL C
    .language_version:
      - 2
      - 0
    .max_flat_workgroup_size: 1024
    .name:           _Z20KernelWithMediumArgs16MediumKernelArgsPc
    .private_segment_fixed_size: 0
    .sgpr_count:     8
    .sgpr_spill_count: 0
    .symbol:         _Z20KernelWithMediumArgs16MediumKernelArgsPc.kd
    .uniform_work_group_size: 1
    .uses_dynamic_stack: false
    .vgpr_count:     2
    .vgpr_spill_count: 0
    .wavefront_size: 32
  - .args:
      - .offset:         0
        .size:           4080
        .value_kind:     by_value
      - .address_space:  global
        .offset:         4080
        .size:           8
        .value_kind:     global_buffer
      - .offset:         4088
        .size:           4
        .value_kind:     hidden_block_count_x
      - .offset:         4092
        .size:           4
        .value_kind:     hidden_block_count_y
      - .offset:         4096
        .size:           4
        .value_kind:     hidden_block_count_z
      - .offset:         4100
        .size:           2
        .value_kind:     hidden_group_size_x
      - .offset:         4102
        .size:           2
        .value_kind:     hidden_group_size_y
      - .offset:         4104
        .size:           2
        .value_kind:     hidden_group_size_z
      - .offset:         4106
        .size:           2
        .value_kind:     hidden_remainder_x
      - .offset:         4108
        .size:           2
        .value_kind:     hidden_remainder_y
      - .offset:         4110
        .size:           2
        .value_kind:     hidden_remainder_z
      - .offset:         4128
        .size:           8
        .value_kind:     hidden_global_offset_x
      - .offset:         4136
        .size:           8
        .value_kind:     hidden_global_offset_y
      - .offset:         4144
        .size:           8
        .value_kind:     hidden_global_offset_z
      - .offset:         4152
        .size:           2
        .value_kind:     hidden_grid_dims
    .group_segment_fixed_size: 0
    .kernarg_segment_align: 8
    .kernarg_segment_size: 4344
    .language:       OpenCL C
    .language_version:
      - 2
      - 0
    .max_flat_workgroup_size: 1024
    .name:           _Z19KernelWithLargeArgs15LargeKernelArgsPc
    .private_segment_fixed_size: 0
    .sgpr_count:     8
    .sgpr_spill_count: 0
    .symbol:         _Z19KernelWithLargeArgs15LargeKernelArgsPc.kd
    .uniform_work_group_size: 1
    .uses_dynamic_stack: false
    .vgpr_count:     2
    .vgpr_spill_count: 0
    .wavefront_size: 32
amdhsa.target:   amdgcn-amd-amdhsa--gfx1250
amdhsa.version:
  - 1
  - 2
...

	.end_amdgpu_metadata
